;; amdgpu-corpus repo=ROCm/rocFFT kind=compiled arch=gfx906 opt=O3
	.text
	.amdgcn_target "amdgcn-amd-amdhsa--gfx906"
	.amdhsa_code_object_version 6
	.protected	fft_rtc_fwd_len1053_factors_3_3_13_3_3_wgs_117_tpt_117_halfLds_sp_ip_CI_unitstride_sbrr_dirReg ; -- Begin function fft_rtc_fwd_len1053_factors_3_3_13_3_3_wgs_117_tpt_117_halfLds_sp_ip_CI_unitstride_sbrr_dirReg
	.globl	fft_rtc_fwd_len1053_factors_3_3_13_3_3_wgs_117_tpt_117_halfLds_sp_ip_CI_unitstride_sbrr_dirReg
	.p2align	8
	.type	fft_rtc_fwd_len1053_factors_3_3_13_3_3_wgs_117_tpt_117_halfLds_sp_ip_CI_unitstride_sbrr_dirReg,@function
fft_rtc_fwd_len1053_factors_3_3_13_3_3_wgs_117_tpt_117_halfLds_sp_ip_CI_unitstride_sbrr_dirReg: ; @fft_rtc_fwd_len1053_factors_3_3_13_3_3_wgs_117_tpt_117_halfLds_sp_ip_CI_unitstride_sbrr_dirReg
; %bb.0:
	s_load_dwordx2 s[2:3], s[4:5], 0x50
	s_load_dwordx4 s[8:11], s[4:5], 0x0
	s_load_dwordx2 s[12:13], s[4:5], 0x18
	v_mul_u32_u24_e32 v1, 0x231, v0
	v_add_u32_sdwa v5, s6, v1 dst_sel:DWORD dst_unused:UNUSED_PAD src0_sel:DWORD src1_sel:WORD_1
	v_mov_b32_e32 v3, 0
	s_waitcnt lgkmcnt(0)
	v_cmp_lt_u64_e64 s[0:1], s[10:11], 2
	v_mov_b32_e32 v1, 0
	v_mov_b32_e32 v6, v3
	s_and_b64 vcc, exec, s[0:1]
	v_mov_b32_e32 v2, 0
	s_cbranch_vccnz .LBB0_8
; %bb.1:
	s_load_dwordx2 s[0:1], s[4:5], 0x10
	s_add_u32 s6, s12, 8
	s_addc_u32 s7, s13, 0
	v_mov_b32_e32 v1, 0
	v_mov_b32_e32 v2, 0
	s_waitcnt lgkmcnt(0)
	s_add_u32 s14, s0, 8
	s_addc_u32 s15, s1, 0
	s_mov_b64 s[16:17], 1
.LBB0_2:                                ; =>This Inner Loop Header: Depth=1
	s_load_dwordx2 s[18:19], s[14:15], 0x0
                                        ; implicit-def: $vgpr7_vgpr8
	s_waitcnt lgkmcnt(0)
	v_or_b32_e32 v4, s19, v6
	v_cmp_ne_u64_e32 vcc, 0, v[3:4]
	s_and_saveexec_b64 s[0:1], vcc
	s_xor_b64 s[20:21], exec, s[0:1]
	s_cbranch_execz .LBB0_4
; %bb.3:                                ;   in Loop: Header=BB0_2 Depth=1
	v_cvt_f32_u32_e32 v4, s18
	v_cvt_f32_u32_e32 v7, s19
	s_sub_u32 s0, 0, s18
	s_subb_u32 s1, 0, s19
	v_mac_f32_e32 v4, 0x4f800000, v7
	v_rcp_f32_e32 v4, v4
	v_mul_f32_e32 v4, 0x5f7ffffc, v4
	v_mul_f32_e32 v7, 0x2f800000, v4
	v_trunc_f32_e32 v7, v7
	v_mac_f32_e32 v4, 0xcf800000, v7
	v_cvt_u32_f32_e32 v7, v7
	v_cvt_u32_f32_e32 v4, v4
	v_mul_lo_u32 v8, s0, v7
	v_mul_hi_u32 v9, s0, v4
	v_mul_lo_u32 v11, s1, v4
	v_mul_lo_u32 v10, s0, v4
	v_add_u32_e32 v8, v9, v8
	v_add_u32_e32 v8, v8, v11
	v_mul_hi_u32 v9, v4, v10
	v_mul_lo_u32 v11, v4, v8
	v_mul_hi_u32 v13, v4, v8
	v_mul_hi_u32 v12, v7, v10
	v_mul_lo_u32 v10, v7, v10
	v_mul_hi_u32 v14, v7, v8
	v_add_co_u32_e32 v9, vcc, v9, v11
	v_addc_co_u32_e32 v11, vcc, 0, v13, vcc
	v_mul_lo_u32 v8, v7, v8
	v_add_co_u32_e32 v9, vcc, v9, v10
	v_addc_co_u32_e32 v9, vcc, v11, v12, vcc
	v_addc_co_u32_e32 v10, vcc, 0, v14, vcc
	v_add_co_u32_e32 v8, vcc, v9, v8
	v_addc_co_u32_e32 v9, vcc, 0, v10, vcc
	v_add_co_u32_e32 v4, vcc, v4, v8
	v_addc_co_u32_e32 v7, vcc, v7, v9, vcc
	v_mul_lo_u32 v8, s0, v7
	v_mul_hi_u32 v9, s0, v4
	v_mul_lo_u32 v10, s1, v4
	v_mul_lo_u32 v11, s0, v4
	v_add_u32_e32 v8, v9, v8
	v_add_u32_e32 v8, v8, v10
	v_mul_lo_u32 v12, v4, v8
	v_mul_hi_u32 v13, v4, v11
	v_mul_hi_u32 v14, v4, v8
	;; [unrolled: 1-line block ×3, first 2 shown]
	v_mul_lo_u32 v11, v7, v11
	v_mul_hi_u32 v9, v7, v8
	v_add_co_u32_e32 v12, vcc, v13, v12
	v_addc_co_u32_e32 v13, vcc, 0, v14, vcc
	v_mul_lo_u32 v8, v7, v8
	v_add_co_u32_e32 v11, vcc, v12, v11
	v_addc_co_u32_e32 v10, vcc, v13, v10, vcc
	v_addc_co_u32_e32 v9, vcc, 0, v9, vcc
	v_add_co_u32_e32 v8, vcc, v10, v8
	v_addc_co_u32_e32 v9, vcc, 0, v9, vcc
	v_add_co_u32_e32 v4, vcc, v4, v8
	v_addc_co_u32_e32 v9, vcc, v7, v9, vcc
	v_mad_u64_u32 v[7:8], s[0:1], v5, v9, 0
	v_mul_hi_u32 v10, v5, v4
	v_add_co_u32_e32 v11, vcc, v10, v7
	v_addc_co_u32_e32 v12, vcc, 0, v8, vcc
	v_mad_u64_u32 v[7:8], s[0:1], v6, v4, 0
	v_mad_u64_u32 v[9:10], s[0:1], v6, v9, 0
	v_add_co_u32_e32 v4, vcc, v11, v7
	v_addc_co_u32_e32 v4, vcc, v12, v8, vcc
	v_addc_co_u32_e32 v7, vcc, 0, v10, vcc
	v_add_co_u32_e32 v4, vcc, v4, v9
	v_addc_co_u32_e32 v9, vcc, 0, v7, vcc
	v_mul_lo_u32 v10, s19, v4
	v_mul_lo_u32 v11, s18, v9
	v_mad_u64_u32 v[7:8], s[0:1], s18, v4, 0
	v_add3_u32 v8, v8, v11, v10
	v_sub_u32_e32 v10, v6, v8
	v_mov_b32_e32 v11, s19
	v_sub_co_u32_e32 v7, vcc, v5, v7
	v_subb_co_u32_e64 v10, s[0:1], v10, v11, vcc
	v_subrev_co_u32_e64 v11, s[0:1], s18, v7
	v_subbrev_co_u32_e64 v10, s[0:1], 0, v10, s[0:1]
	v_cmp_le_u32_e64 s[0:1], s19, v10
	v_cndmask_b32_e64 v12, 0, -1, s[0:1]
	v_cmp_le_u32_e64 s[0:1], s18, v11
	v_cndmask_b32_e64 v11, 0, -1, s[0:1]
	v_cmp_eq_u32_e64 s[0:1], s19, v10
	v_cndmask_b32_e64 v10, v12, v11, s[0:1]
	v_add_co_u32_e64 v11, s[0:1], 2, v4
	v_addc_co_u32_e64 v12, s[0:1], 0, v9, s[0:1]
	v_add_co_u32_e64 v13, s[0:1], 1, v4
	v_addc_co_u32_e64 v14, s[0:1], 0, v9, s[0:1]
	v_subb_co_u32_e32 v8, vcc, v6, v8, vcc
	v_cmp_ne_u32_e64 s[0:1], 0, v10
	v_cmp_le_u32_e32 vcc, s19, v8
	v_cndmask_b32_e64 v10, v14, v12, s[0:1]
	v_cndmask_b32_e64 v12, 0, -1, vcc
	v_cmp_le_u32_e32 vcc, s18, v7
	v_cndmask_b32_e64 v7, 0, -1, vcc
	v_cmp_eq_u32_e32 vcc, s19, v8
	v_cndmask_b32_e32 v7, v12, v7, vcc
	v_cmp_ne_u32_e32 vcc, 0, v7
	v_cndmask_b32_e64 v7, v13, v11, s[0:1]
	v_cndmask_b32_e32 v8, v9, v10, vcc
	v_cndmask_b32_e32 v7, v4, v7, vcc
.LBB0_4:                                ;   in Loop: Header=BB0_2 Depth=1
	s_andn2_saveexec_b64 s[0:1], s[20:21]
	s_cbranch_execz .LBB0_6
; %bb.5:                                ;   in Loop: Header=BB0_2 Depth=1
	v_cvt_f32_u32_e32 v4, s18
	s_sub_i32 s20, 0, s18
	v_rcp_iflag_f32_e32 v4, v4
	v_mul_f32_e32 v4, 0x4f7ffffe, v4
	v_cvt_u32_f32_e32 v4, v4
	v_mul_lo_u32 v7, s20, v4
	v_mul_hi_u32 v7, v4, v7
	v_add_u32_e32 v4, v4, v7
	v_mul_hi_u32 v4, v5, v4
	v_mul_lo_u32 v7, v4, s18
	v_add_u32_e32 v8, 1, v4
	v_sub_u32_e32 v7, v5, v7
	v_subrev_u32_e32 v9, s18, v7
	v_cmp_le_u32_e32 vcc, s18, v7
	v_cndmask_b32_e32 v7, v7, v9, vcc
	v_cndmask_b32_e32 v4, v4, v8, vcc
	v_add_u32_e32 v8, 1, v4
	v_cmp_le_u32_e32 vcc, s18, v7
	v_cndmask_b32_e32 v7, v4, v8, vcc
	v_mov_b32_e32 v8, v3
.LBB0_6:                                ;   in Loop: Header=BB0_2 Depth=1
	s_or_b64 exec, exec, s[0:1]
	v_mul_lo_u32 v4, v8, s18
	v_mul_lo_u32 v11, v7, s19
	v_mad_u64_u32 v[9:10], s[0:1], v7, s18, 0
	s_load_dwordx2 s[0:1], s[6:7], 0x0
	s_add_u32 s16, s16, 1
	v_add3_u32 v4, v10, v11, v4
	v_sub_co_u32_e32 v5, vcc, v5, v9
	v_subb_co_u32_e32 v4, vcc, v6, v4, vcc
	s_waitcnt lgkmcnt(0)
	v_mul_lo_u32 v4, s0, v4
	v_mul_lo_u32 v6, s1, v5
	v_mad_u64_u32 v[1:2], s[0:1], s0, v5, v[1:2]
	s_addc_u32 s17, s17, 0
	s_add_u32 s6, s6, 8
	v_add3_u32 v2, v6, v2, v4
	v_mov_b32_e32 v4, s10
	v_mov_b32_e32 v5, s11
	s_addc_u32 s7, s7, 0
	v_cmp_ge_u64_e32 vcc, s[16:17], v[4:5]
	s_add_u32 s14, s14, 8
	s_addc_u32 s15, s15, 0
	s_cbranch_vccnz .LBB0_9
; %bb.7:                                ;   in Loop: Header=BB0_2 Depth=1
	v_mov_b32_e32 v5, v7
	v_mov_b32_e32 v6, v8
	s_branch .LBB0_2
.LBB0_8:
	v_mov_b32_e32 v8, v6
	v_mov_b32_e32 v7, v5
.LBB0_9:
	s_lshl_b64 s[0:1], s[10:11], 3
	s_add_u32 s0, s12, s0
	s_addc_u32 s1, s13, s1
	s_load_dwordx2 s[6:7], s[0:1], 0x0
	s_load_dwordx2 s[10:11], s[4:5], 0x20
                                        ; implicit-def: $vgpr20
                                        ; implicit-def: $vgpr22
                                        ; implicit-def: $vgpr14
                                        ; implicit-def: $vgpr18
                                        ; implicit-def: $vgpr12
                                        ; implicit-def: $vgpr16
                                        ; implicit-def: $vgpr9
	s_waitcnt lgkmcnt(0)
	v_mad_u64_u32 v[1:2], s[0:1], s6, v7, v[1:2]
	v_mul_lo_u32 v3, s6, v8
	v_mul_lo_u32 v4, s7, v7
	s_mov_b32 s0, 0x2302303
	v_mul_hi_u32 v5, v0, s0
	v_cmp_gt_u64_e64 s[0:1], s[10:11], v[7:8]
	v_add3_u32 v2, v4, v2, v3
	v_lshlrev_b64 v[2:3], 3, v[1:2]
	v_mul_u32_u24_e32 v4, 0x75, v5
	v_sub_u32_e32 v0, v0, v4
                                        ; implicit-def: $vgpr5
                                        ; implicit-def: $vgpr7
	s_and_saveexec_b64 s[4:5], s[0:1]
	s_cbranch_execz .LBB0_11
; %bb.10:
	v_mov_b32_e32 v1, 0
	v_mov_b32_e32 v4, s3
	v_add_co_u32_e32 v6, vcc, s2, v2
	v_addc_co_u32_e32 v7, vcc, v4, v3, vcc
	v_lshlrev_b64 v[4:5], 3, v[0:1]
	s_movk_i32 s6, 0x1000
	v_add_co_u32_e32 v23, vcc, v6, v4
	v_addc_co_u32_e32 v24, vcc, v7, v5, vcc
	v_add_co_u32_e32 v25, vcc, s6, v23
	v_addc_co_u32_e32 v26, vcc, 0, v24, vcc
	global_load_dwordx2 v[4:5], v[23:24], off
	global_load_dwordx2 v[6:7], v[23:24], off offset:936
	global_load_dwordx2 v[13:14], v[23:24], off offset:3744
	;; [unrolled: 1-line block ×8, first 2 shown]
.LBB0_11:
	s_or_b64 exec, exec, s[4:5]
	s_waitcnt vmcnt(2)
	v_add_f32_e32 v10, v19, v21
	v_add_f32_e32 v1, v4, v19
	v_fmac_f32_e32 v4, -0.5, v10
	v_sub_f32_e32 v10, v20, v22
	v_mov_b32_e32 v23, v4
	v_fmac_f32_e32 v23, 0x3f5db3d7, v10
	v_fmac_f32_e32 v4, 0xbf5db3d7, v10
	v_add_f32_e32 v10, v5, v20
	v_add_f32_e32 v24, v10, v22
	;; [unrolled: 1-line block ×4, first 2 shown]
	v_fmac_f32_e32 v5, -0.5, v10
	v_add_f32_e32 v10, v6, v13
	v_fmac_f32_e32 v6, -0.5, v20
	v_add_f32_e32 v1, v1, v21
	v_sub_f32_e32 v19, v19, v21
	v_sub_f32_e32 v20, v14, v18
	v_mov_b32_e32 v21, v6
	v_fmac_f32_e32 v21, 0x3f5db3d7, v20
	v_fmac_f32_e32 v6, 0xbf5db3d7, v20
	v_add_f32_e32 v20, v7, v14
	v_add_f32_e32 v26, v20, v18
	;; [unrolled: 1-line block ×3, first 2 shown]
	s_waitcnt vmcnt(0)
	v_add_f32_e32 v18, v15, v8
	v_add_f32_e32 v10, v10, v17
	v_sub_f32_e32 v13, v13, v17
	v_add_f32_e32 v17, v11, v8
	v_fmac_f32_e32 v11, -0.5, v18
	v_mad_u32_u24 v27, v0, 12, 0
	v_sub_f32_e32 v18, v9, v16
	v_mov_b32_e32 v20, v11
	ds_write2_b32 v27, v1, v23 offset1:1
	ds_write_b32 v27, v4 offset:8
	v_lshlrev_b32_e32 v1, 3, v0
	v_fmac_f32_e32 v20, 0x3f5db3d7, v18
	v_fmac_f32_e32 v11, 0xbf5db3d7, v18
	v_add_f32_e32 v18, v12, v9
	v_add_u32_e32 v29, 0x57c, v27
	v_sub_u32_e32 v1, v27, v1
	v_mov_b32_e32 v25, v5
	v_add_f32_e32 v17, v15, v17
	v_add_f32_e32 v18, v16, v18
	;; [unrolled: 1-line block ×3, first 2 shown]
	ds_write2_b32 v29, v10, v21 offset1:1
	ds_write_b32 v27, v6 offset:1412
	v_add_u32_e32 v6, 0xaf8, v27
	v_add_u32_e32 v32, 0x200, v1
	v_fmac_f32_e32 v5, 0x3f5db3d7, v19
	v_fmac_f32_e32 v7, -0.5, v14
	v_add_u32_e32 v28, 0xea, v0
	s_mov_b32 s4, 0xaaab
	v_sub_f32_e32 v15, v8, v15
	ds_write2_b32 v6, v17, v20 offset1:1
	ds_write_b32 v27, v11 offset:2816
	s_waitcnt lgkmcnt(0)
	s_barrier
	ds_read2_b32 v[8:9], v1 offset1:117
	ds_read2_b32 v[10:11], v32 offset0:106 offset1:223
	v_add_u32_e32 v31, 0xa00, v1
	v_add_u32_e32 v4, 0x600, v1
	ds_read_b32 v30, v1 offset:3744
	ds_read2_b32 v[20:21], v31 offset0:62 offset1:179
	ds_read2_b32 v[22:23], v4 offset0:84 offset1:201
	s_waitcnt lgkmcnt(0)
	s_barrier
	v_mov_b32_e32 v14, v7
	v_fmac_f32_e32 v12, -0.5, v16
	ds_write_b32 v27, v5 offset:8
	v_mul_u32_u24_sdwa v5, v28, s4 dst_sel:DWORD dst_unused:UNUSED_PAD src0_sel:WORD_0 src1_sel:DWORD
	v_fmac_f32_e32 v25, 0xbf5db3d7, v19
	v_fmac_f32_e32 v14, 0xbf5db3d7, v13
	;; [unrolled: 1-line block ×3, first 2 shown]
	v_mov_b32_e32 v13, v12
	v_lshrrev_b32_e32 v40, 17, v5
	ds_write2_b32 v27, v24, v25 offset1:1
	v_fmac_f32_e32 v13, 0xbf5db3d7, v15
	v_fmac_f32_e32 v12, 0x3f5db3d7, v15
	ds_write2_b32 v29, v26, v14 offset1:1
	ds_write_b32 v27, v7 offset:1412
	ds_write2_b32 v6, v18, v13 offset1:1
	ds_write_b32 v27, v12 offset:2816
	v_mul_lo_u16_e32 v5, 3, v40
	v_add_u32_e32 v29, 0x75, v0
	s_movk_i32 s4, 0xab
	v_sub_u16_e32 v41, v28, v5
	v_mul_lo_u16_sdwa v6, v29, s4 dst_sel:DWORD dst_unused:UNUSED_PAD src0_sel:BYTE_0 src1_sel:DWORD
	v_lshlrev_b32_e32 v5, 4, v41
	v_lshrrev_b16_e32 v42, 9, v6
	s_waitcnt lgkmcnt(0)
	s_barrier
	global_load_dwordx4 v[12:15], v5, s[8:9]
	v_mul_lo_u16_e32 v6, 3, v42
	v_mov_b32_e32 v5, 4
	v_sub_u16_e32 v43, v29, v6
	v_lshlrev_b32_sdwa v6, v5, v43 dst_sel:DWORD dst_unused:UNUSED_PAD src0_sel:DWORD src1_sel:BYTE_0
	global_load_dwordx4 v[16:19], v6, s[8:9]
	v_mul_lo_u16_sdwa v6, v0, s4 dst_sel:DWORD dst_unused:UNUSED_PAD src0_sel:BYTE_0 src1_sel:DWORD
	v_lshrrev_b16_e32 v44, 9, v6
	v_mul_lo_u16_e32 v6, 3, v44
	v_sub_u16_e32 v45, v0, v6
	v_lshlrev_b32_sdwa v5, v5, v45 dst_sel:DWORD dst_unused:UNUSED_PAD src0_sel:DWORD src1_sel:BYTE_0
	global_load_dwordx4 v[36:39], v5, s[8:9]
	ds_read2_b32 v[5:6], v4 offset0:84 offset1:201
	ds_read_b32 v7, v1 offset:3744
	s_movk_i32 s4, 0x51
	v_cmp_gt_u32_e32 vcc, s4, v0
	s_waitcnt vmcnt(2) lgkmcnt(1)
	v_mul_f32_e32 v24, v6, v13
	v_fma_f32 v25, v23, v12, -v24
	s_waitcnt lgkmcnt(0)
	v_mul_f32_e32 v24, v7, v15
	v_fma_f32 v26, v30, v14, -v24
	v_mul_f32_e32 v27, v30, v15
	v_mul_f32_e32 v30, v23, v13
	v_fmac_f32_e32 v27, v7, v14
	v_fmac_f32_e32 v30, v6, v12
	ds_read2_b32 v[6:7], v31 offset0:62 offset1:179
	ds_read2_b32 v[14:15], v32 offset0:106 offset1:223
	s_waitcnt vmcnt(1)
	v_mul_f32_e32 v12, v5, v17
	v_mul_f32_e32 v31, v22, v17
	v_fma_f32 v24, v22, v16, -v12
	v_fmac_f32_e32 v31, v5, v16
	s_waitcnt lgkmcnt(1)
	v_mul_f32_e32 v5, v7, v19
	s_waitcnt vmcnt(0)
	v_mul_f32_e32 v22, v20, v39
	v_fma_f32 v33, v21, v18, -v5
	v_mul_f32_e32 v5, v6, v39
	v_fmac_f32_e32 v22, v6, v38
	s_waitcnt lgkmcnt(0)
	v_mul_f32_e32 v6, v15, v37
	v_mul_f32_e32 v34, v21, v19
	v_fma_f32 v5, v20, v38, -v5
	v_fma_f32 v23, v11, v36, -v6
	v_fmac_f32_e32 v34, v7, v18
	v_mul_f32_e32 v35, v11, v37
	v_add_f32_e32 v7, v23, v5
	v_fmac_f32_e32 v35, v15, v36
	v_fma_f32 v12, -0.5, v7, v8
	v_add_f32_e32 v6, v8, v23
	v_mov_b32_e32 v7, v12
	v_sub_f32_e32 v8, v35, v22
	v_fmac_f32_e32 v7, 0x3f5db3d7, v8
	v_fmac_f32_e32 v12, 0xbf5db3d7, v8
	v_add_f32_e32 v8, v9, v24
	v_add_f32_e32 v13, v8, v33
	v_add_f32_e32 v8, v24, v33
	v_fmac_f32_e32 v9, -0.5, v8
	v_mov_b32_e32 v8, v9
	v_sub_f32_e32 v11, v31, v34
	v_add_f32_e32 v15, v25, v26
	v_fmac_f32_e32 v8, 0x3f5db3d7, v11
	v_fmac_f32_e32 v9, 0xbf5db3d7, v11
	v_add_f32_e32 v11, v10, v25
	v_fmac_f32_e32 v10, -0.5, v15
	v_add_f32_e32 v16, v11, v26
	v_mov_b32_e32 v17, v10
	v_sub_f32_e32 v11, v30, v27
	v_mov_b32_e32 v18, 2
	v_fmac_f32_e32 v17, 0x3f5db3d7, v11
	v_fmac_f32_e32 v10, 0xbf5db3d7, v11
	v_mul_u32_u24_e32 v11, 36, v44
	v_lshlrev_b32_sdwa v15, v18, v45 dst_sel:DWORD dst_unused:UNUSED_PAD src0_sel:DWORD src1_sel:BYTE_0
	v_add3_u32 v15, 0, v11, v15
	v_lshlrev_b32_sdwa v11, v18, v43 dst_sel:DWORD dst_unused:UNUSED_PAD src0_sel:DWORD src1_sel:BYTE_0
	v_mul_u32_u24_e32 v18, 36, v42
	v_add3_u32 v36, 0, v18, v11
	v_mul_u32_u24_e32 v11, 36, v40
	v_lshlrev_b32_e32 v18, 2, v41
	v_add3_u32 v37, 0, v11, v18
	ds_read2_b32 v[18:19], v1 offset1:117
	v_add_f32_e32 v6, v6, v5
	s_waitcnt lgkmcnt(0)
	s_barrier
	ds_write2_b32 v15, v6, v7 offset1:3
	ds_write_b32 v15, v12 offset:24
	ds_write2_b32 v36, v13, v8 offset1:3
	ds_write_b32 v36, v9 offset:24
	;; [unrolled: 2-line block ×3, first 2 shown]
	s_waitcnt lgkmcnt(0)
	s_barrier
	s_waitcnt lgkmcnt(0)
                                        ; implicit-def: $vgpr32
                                        ; implicit-def: $vgpr21
	s_and_saveexec_b64 s[4:5], vcc
	s_cbranch_execz .LBB0_13
; %bb.12:
	v_add_u32_e32 v8, 0x400, v1
	ds_read2_b32 v[6:7], v1 offset1:81
	ds_read2_b32 v[12:13], v1 offset0:162 offset1:243
	ds_read2_b32 v[8:9], v8 offset0:68 offset1:149
	;; [unrolled: 1-line block ×3, first 2 shown]
	v_add_u32_e32 v4, 0x800, v1
	ds_read2_b32 v[10:11], v4 offset0:136 offset1:217
	v_add_u32_e32 v4, 0xc00, v1
	ds_read2_b32 v[20:21], v4 offset0:42 offset1:123
	ds_read_b32 v32, v1 offset:3888
.LBB0_13:
	s_or_b64 exec, exec, s[4:5]
	v_add_f32_e32 v4, v18, v35
	v_add_f32_e32 v4, v4, v22
	;; [unrolled: 1-line block ×3, first 2 shown]
	v_fma_f32 v22, -0.5, v22, v18
	v_sub_f32_e32 v18, v23, v5
	v_mov_b32_e32 v5, v22
	v_fmac_f32_e32 v5, 0xbf5db3d7, v18
	v_fmac_f32_e32 v22, 0x3f5db3d7, v18
	v_add_f32_e32 v18, v19, v31
	v_add_f32_e32 v23, v18, v34
	;; [unrolled: 1-line block ×3, first 2 shown]
	v_fmac_f32_e32 v19, -0.5, v18
	v_sub_f32_e32 v24, v24, v33
	v_mov_b32_e32 v18, v19
	v_fmac_f32_e32 v18, 0xbf5db3d7, v24
	v_fmac_f32_e32 v19, 0x3f5db3d7, v24
	v_add_f32_e32 v24, v14, v30
	v_add_f32_e32 v24, v24, v27
	;; [unrolled: 1-line block ×3, first 2 shown]
	v_fmac_f32_e32 v14, -0.5, v27
	v_sub_f32_e32 v26, v25, v26
	v_mov_b32_e32 v25, v14
	v_fmac_f32_e32 v25, 0xbf5db3d7, v26
	v_fmac_f32_e32 v14, 0x3f5db3d7, v26
	s_waitcnt lgkmcnt(0)
	s_barrier
	ds_write2_b32 v15, v4, v5 offset1:3
	ds_write_b32 v15, v22 offset:24
	ds_write2_b32 v36, v23, v18 offset1:3
	ds_write_b32 v36, v19 offset:24
	;; [unrolled: 2-line block ×3, first 2 shown]
	s_waitcnt lgkmcnt(0)
	s_barrier
	s_waitcnt lgkmcnt(0)
                                        ; implicit-def: $vgpr33
                                        ; implicit-def: $vgpr27
	s_and_saveexec_b64 s[4:5], vcc
	s_cbranch_execz .LBB0_15
; %bb.14:
	v_add_u32_e32 v14, 0x400, v1
	ds_read2_b32 v[4:5], v1 offset1:81
	ds_read2_b32 v[22:23], v1 offset0:162 offset1:243
	ds_read2_b32 v[18:19], v14 offset0:68 offset1:149
	v_add_u32_e32 v14, 0x600, v1
	ds_read2_b32 v[24:25], v14 offset0:102 offset1:183
	v_add_u32_e32 v14, 0x800, v1
	v_add_u32_e32 v26, 0xc00, v1
	ds_read2_b32 v[14:15], v14 offset0:136 offset1:217
	ds_read2_b32 v[26:27], v26 offset0:42 offset1:123
	ds_read_b32 v33, v1 offset:3888
.LBB0_15:
	s_or_b64 exec, exec, s[4:5]
	v_mov_b32_e32 v30, 57
	v_mul_lo_u16_sdwa v30, v0, v30 dst_sel:DWORD dst_unused:UNUSED_PAD src0_sel:BYTE_0 src1_sel:DWORD
	v_lshrrev_b16_e32 v30, 9, v30
	v_mul_lo_u16_e32 v31, 9, v30
	v_sub_u16_e32 v31, v0, v31
	v_mov_b32_e32 v34, 12
	v_mul_u32_u24_sdwa v34, v31, v34 dst_sel:DWORD dst_unused:UNUSED_PAD src0_sel:BYTE_0 src1_sel:DWORD
	v_lshlrev_b32_e32 v34, 3, v34
	global_load_dwordx4 v[35:38], v34, s[8:9] offset:128
	global_load_dwordx4 v[44:47], v34, s[8:9] offset:112
	;; [unrolled: 1-line block ×6, first 2 shown]
	s_waitcnt vmcnt(0) lgkmcnt(0)
	s_barrier
	v_mul_f32_e32 v34, v33, v38
	v_mul_f32_e32 v42, v32, v38
	;; [unrolled: 1-line block ×6, first 2 shown]
	v_fma_f32 v43, v32, v37, -v34
	v_mul_f32_e32 v32, v15, v45
	v_fmac_f32_e32 v42, v33, v37
	v_mul_f32_e32 v33, v11, v45
	v_fmac_f32_e32 v39, v27, v35
	v_mul_f32_e32 v45, v14, v51
	v_mul_f32_e32 v27, v10, v51
	v_fma_f32 v40, v21, v35, -v38
	v_mul_f32_e32 v47, v25, v49
	v_mul_f32_e32 v21, v17, v49
	v_fma_f32 v37, v20, v46, -v41
	v_mul_f32_e32 v49, v24, v55
	v_mul_f32_e32 v20, v16, v55
	v_fmac_f32_e32 v36, v26, v46
	v_mul_f32_e32 v46, v19, v53
	v_mul_f32_e32 v26, v9, v53
	v_fma_f32 v34, v11, v44, -v32
	v_fmac_f32_e32 v33, v15, v44
	v_mul_f32_e32 v11, v18, v59
	v_mul_f32_e32 v35, v8, v59
	v_mul_f32_e32 v51, v23, v57
	v_mul_f32_e32 v38, v13, v57
	v_fma_f32 v32, v10, v50, -v45
	v_mul_f32_e32 v45, v22, v63
	v_mul_f32_e32 v41, v12, v63
	v_fmac_f32_e32 v27, v14, v50
	v_mul_f32_e32 v14, v5, v61
	v_mul_f32_e32 v44, v7, v61
	v_fma_f32 v10, v17, v48, -v47
	v_fmac_f32_e32 v21, v25, v48
	v_fma_f32 v15, v16, v54, -v49
	v_fmac_f32_e32 v20, v24, v54
	;; [unrolled: 2-line block ×7, first 2 shown]
	s_and_saveexec_b64 s[4:5], vcc
	s_cbranch_execz .LBB0_17
; %bb.16:
	v_sub_f32_e32 v12, v44, v42
	v_mul_f32_e32 v7, 0xbe750f2a, v12
	v_sub_f32_e32 v14, v41, v39
	v_add_f32_e32 v11, v19, v43
	v_mov_b32_e32 v5, v7
	v_mul_f32_e32 v8, 0x3eedf032, v14
	v_fmac_f32_e32 v5, 0xbf788fa5, v11
	v_add_f32_e32 v13, v18, v40
	v_mov_b32_e32 v22, v8
	v_sub_f32_e32 v23, v38, v36
	v_add_f32_e32 v5, v6, v5
	v_fmac_f32_e32 v22, 0x3f62ad3f, v13
	v_mul_f32_e32 v24, 0xbf29c268, v23
	v_add_f32_e32 v5, v22, v5
	v_add_f32_e32 v22, v17, v37
	v_mov_b32_e32 v25, v24
	v_sub_f32_e32 v45, v35, v33
	v_fmac_f32_e32 v25, 0xbf3f9e67, v22
	v_mul_f32_e32 v46, 0x3f52af12, v45
	s_mov_b32 s6, 0xbf788fa5
	v_add_f32_e32 v5, v25, v5
	v_add_f32_e32 v25, v16, v34
	v_mov_b32_e32 v47, v46
	v_sub_f32_e32 v48, v26, v27
	s_mov_b32 s10, 0x3f62ad3f
	v_fma_f32 v7, v11, s6, -v7
	v_fmac_f32_e32 v47, 0x3f116cb1, v25
	v_mul_f32_e32 v49, 0xbf6f5d39, v48
	v_add_f32_e32 v7, v6, v7
	v_fma_f32 v8, v13, s10, -v8
	s_mov_b32 s7, 0xbf3f9e67
	v_add_f32_e32 v5, v47, v5
	v_add_f32_e32 v47, v9, v32
	v_mov_b32_e32 v50, v49
	v_add_f32_e32 v7, v8, v7
	v_fma_f32 v8, v22, s7, -v24
	s_mov_b32 s13, 0x3f116cb1
	v_fmac_f32_e32 v50, 0xbeb58ec6, v47
	v_sub_f32_e32 v51, v20, v21
	v_add_f32_e32 v7, v8, v7
	v_fma_f32 v8, v25, s13, -v46
	s_mov_b32 s11, 0xbeb58ec6
	v_add_f32_e32 v5, v50, v5
	v_add_f32_e32 v50, v15, v10
	v_mul_f32_e32 v52, 0x3f7e222b, v51
	v_add_f32_e32 v7, v8, v7
	s_mov_b32 s12, 0x3df6dbef
	v_fma_f32 v8, v47, s11, -v49
	v_add_f32_e32 v7, v8, v7
	v_fma_f32 v8, v50, s12, -v52
	v_mul_f32_e32 v24, 0xbf29c268, v12
	v_add_f32_e32 v7, v8, v7
	v_mov_b32_e32 v8, v24
	v_mul_f32_e32 v46, 0x3f7e222b, v14
	v_fmac_f32_e32 v8, 0xbf3f9e67, v11
	v_mov_b32_e32 v49, v46
	v_add_f32_e32 v8, v6, v8
	v_fmac_f32_e32 v49, 0x3df6dbef, v13
	v_add_f32_e32 v8, v49, v8
	v_mul_f32_e32 v49, 0xbf52af12, v23
	v_mov_b32_e32 v53, v52
	v_mov_b32_e32 v52, v49
	v_fmac_f32_e32 v52, 0x3f116cb1, v22
	v_fmac_f32_e32 v53, 0x3df6dbef, v50
	v_add_f32_e32 v8, v52, v8
	v_mul_f32_e32 v52, 0x3e750f2a, v45
	v_add_f32_e32 v5, v53, v5
	v_mov_b32_e32 v53, v52
	v_fmac_f32_e32 v53, 0xbf788fa5, v25
	v_fma_f32 v24, v11, s7, -v24
	v_add_f32_e32 v8, v53, v8
	v_mul_f32_e32 v53, 0x3eedf032, v48
	v_add_f32_e32 v24, v6, v24
	v_fma_f32 v46, v13, s12, -v46
	v_mov_b32_e32 v54, v53
	v_add_f32_e32 v24, v46, v24
	v_fma_f32 v46, v22, s13, -v49
	v_fmac_f32_e32 v54, 0x3f62ad3f, v47
	v_add_f32_e32 v24, v46, v24
	v_fma_f32 v46, v25, s6, -v52
	v_add_f32_e32 v8, v54, v8
	v_mul_f32_e32 v54, 0xbf6f5d39, v51
	v_add_f32_e32 v24, v46, v24
	v_fma_f32 v46, v47, s10, -v53
	v_add_f32_e32 v24, v46, v24
	v_fma_f32 v46, v50, s11, -v54
	v_add_f32_e32 v24, v46, v24
	v_mul_f32_e32 v46, 0xbf6f5d39, v12
	v_mov_b32_e32 v49, v46
	v_mul_f32_e32 v52, 0x3f29c268, v14
	v_fmac_f32_e32 v49, 0xbeb58ec6, v11
	v_mov_b32_e32 v53, v52
	v_add_f32_e32 v49, v6, v49
	v_fmac_f32_e32 v53, 0xbf3f9e67, v13
	v_add_f32_e32 v49, v53, v49
	v_mul_f32_e32 v53, 0x3eedf032, v23
	v_mov_b32_e32 v55, v54
	v_mov_b32_e32 v54, v53
	v_fmac_f32_e32 v54, 0x3f62ad3f, v22
	v_fmac_f32_e32 v55, 0xbeb58ec6, v50
	v_add_f32_e32 v49, v54, v49
	v_mul_f32_e32 v54, 0xbf7e222b, v45
	v_add_f32_e32 v8, v55, v8
	v_mov_b32_e32 v55, v54
	v_fmac_f32_e32 v55, 0x3df6dbef, v25
	v_fma_f32 v46, v11, s11, -v46
	v_add_f32_e32 v49, v55, v49
	v_mul_f32_e32 v55, 0x3e750f2a, v48
	v_add_f32_e32 v46, v6, v46
	v_fma_f32 v52, v13, s7, -v52
	v_mov_b32_e32 v56, v55
	v_add_f32_e32 v46, v52, v46
	v_fma_f32 v52, v22, s10, -v53
	v_fmac_f32_e32 v56, 0xbf788fa5, v47
	v_add_f32_e32 v46, v52, v46
	v_fma_f32 v52, v25, s12, -v54
	v_add_f32_e32 v49, v56, v49
	v_mul_f32_e32 v56, 0x3f52af12, v51
	v_add_f32_e32 v46, v52, v46
	v_fma_f32 v52, v47, s6, -v55
	v_add_f32_e32 v46, v52, v46
	v_fma_f32 v52, v50, s13, -v56
	v_add_f32_e32 v46, v52, v46
	v_mul_f32_e32 v52, 0xbf7e222b, v12
	;; [unrolled: 36-line block ×3, first 2 shown]
	v_mov_b32_e32 v55, v54
	v_mul_f32_e32 v56, 0xbf6f5d39, v14
	v_fmac_f32_e32 v55, 0x3f116cb1, v11
	v_mov_b32_e32 v57, v56
	v_add_f32_e32 v55, v6, v55
	v_fmac_f32_e32 v57, 0xbeb58ec6, v13
	v_add_f32_e32 v55, v57, v55
	v_mul_f32_e32 v57, 0xbe750f2a, v23
	v_mov_b32_e32 v59, v58
	v_mov_b32_e32 v58, v57
	v_fmac_f32_e32 v58, 0xbf788fa5, v22
	v_fmac_f32_e32 v59, 0xbf3f9e67, v50
	v_add_f32_e32 v55, v58, v55
	v_mul_f32_e32 v58, 0x3f29c268, v45
	v_add_f32_e32 v53, v59, v53
	v_mov_b32_e32 v59, v58
	v_fmac_f32_e32 v59, 0xbf3f9e67, v25
	v_fma_f32 v54, v11, s13, -v54
	v_add_f32_e32 v55, v59, v55
	v_mul_f32_e32 v59, 0x3f7e222b, v48
	v_add_f32_e32 v54, v6, v54
	v_fma_f32 v56, v13, s11, -v56
	v_mov_b32_e32 v60, v59
	v_add_f32_e32 v54, v56, v54
	v_fma_f32 v56, v22, s6, -v57
	v_fmac_f32_e32 v60, 0x3df6dbef, v47
	v_add_f32_e32 v54, v56, v54
	v_fma_f32 v56, v25, s7, -v58
	v_add_f32_e32 v55, v60, v55
	v_mul_f32_e32 v60, 0x3eedf032, v51
	v_add_f32_e32 v54, v56, v54
	v_fma_f32 v56, v47, s12, -v59
	v_add_f32_e32 v54, v56, v54
	v_fma_f32 v56, v50, s10, -v60
	v_mul_f32_e32 v12, 0xbeedf032, v12
	v_add_f32_e32 v54, v56, v54
	v_mov_b32_e32 v56, v12
	v_fmac_f32_e32 v56, 0x3f62ad3f, v11
	v_fma_f32 v11, v11, s10, -v12
	v_add_f32_e32 v56, v6, v56
	v_add_f32_e32 v11, v6, v11
	;; [unrolled: 1-line block ×3, first 2 shown]
	v_mul_f32_e32 v14, 0xbf52af12, v14
	v_add_f32_e32 v6, v6, v18
	v_mov_b32_e32 v57, v14
	v_add_f32_e32 v6, v6, v17
	v_fmac_f32_e32 v57, 0x3f116cb1, v13
	v_mul_f32_e32 v23, 0xbf7e222b, v23
	v_add_f32_e32 v6, v6, v16
	v_add_f32_e32 v56, v57, v56
	v_mov_b32_e32 v57, v23
	v_add_f32_e32 v6, v6, v9
	v_fmac_f32_e32 v57, 0x3df6dbef, v22
	v_mul_f32_e32 v45, 0xbf6f5d39, v45
	v_fma_f32 v12, v13, s13, -v14
	v_add_f32_e32 v6, v6, v15
	v_add_f32_e32 v56, v57, v56
	v_mov_b32_e32 v57, v45
	v_add_f32_e32 v11, v12, v11
	v_fma_f32 v12, v22, s12, -v23
	v_add_f32_e32 v6, v6, v10
	v_fmac_f32_e32 v57, 0xbeb58ec6, v25
	v_mul_f32_e32 v48, 0xbf29c268, v48
	v_add_f32_e32 v11, v12, v11
	v_fma_f32 v12, v25, s11, -v45
	v_add_f32_e32 v6, v6, v32
	v_add_f32_e32 v56, v57, v56
	v_mov_b32_e32 v57, v48
	v_mul_f32_e32 v51, 0xbe750f2a, v51
	v_add_f32_e32 v11, v12, v11
	v_fma_f32 v12, v47, s7, -v48
	v_add_f32_e32 v6, v6, v34
	v_fmac_f32_e32 v57, 0xbf3f9e67, v47
	v_add_f32_e32 v11, v12, v11
	v_fma_f32 v12, v50, s6, -v51
	v_add_f32_e32 v6, v6, v37
	v_mov_b32_e32 v13, 2
	v_mov_b32_e32 v61, v60
	v_add_f32_e32 v56, v57, v56
	v_mov_b32_e32 v57, v51
	v_add_f32_e32 v11, v12, v11
	v_add_f32_e32 v6, v6, v40
	v_mul_u32_u24_e32 v12, 0x1d4, v30
	v_lshlrev_b32_sdwa v13, v13, v31 dst_sel:DWORD dst_unused:UNUSED_PAD src0_sel:DWORD src1_sel:BYTE_0
	v_fmac_f32_e32 v61, 0x3f62ad3f, v50
	v_fmac_f32_e32 v57, 0xbf788fa5, v50
	v_add_f32_e32 v6, v6, v43
	v_add3_u32 v12, 0, v12, v13
	v_add_f32_e32 v55, v61, v55
	v_add_f32_e32 v56, v57, v56
	ds_write2_b32 v12, v6, v11 offset1:9
	ds_write2_b32 v12, v54, v52 offset0:18 offset1:27
	ds_write2_b32 v12, v46, v24 offset0:36 offset1:45
	;; [unrolled: 1-line block ×5, first 2 shown]
	ds_write_b32 v12, v56 offset:432
.LBB0_17:
	s_or_b64 exec, exec, s[4:5]
	v_add_u32_e32 v22, 0x200, v1
	v_add_u32_e32 v24, 0xa00, v1
	;; [unrolled: 1-line block ×3, first 2 shown]
	s_waitcnt lgkmcnt(0)
	s_barrier
	ds_read2_b32 v[7:8], v1 offset1:117
	ds_read2_b32 v[5:6], v22 offset0:106 offset1:223
	ds_read2_b32 v[13:14], v24 offset0:62 offset1:179
	;; [unrolled: 1-line block ×3, first 2 shown]
	ds_read_b32 v25, v1 offset:3744
	s_waitcnt lgkmcnt(0)
	s_barrier
	s_and_saveexec_b64 s[4:5], vcc
	s_cbranch_execz .LBB0_19
; %bb.18:
	v_add_f32_e32 v45, v4, v44
	v_add_f32_e32 v45, v45, v41
	;; [unrolled: 1-line block ×10, first 2 shown]
	v_sub_f32_e32 v19, v19, v43
	v_add_f32_e32 v45, v45, v39
	v_mul_f32_e32 v43, 0xbeedf032, v19
	v_mul_f32_e32 v46, 0xbf52af12, v19
	;; [unrolled: 1-line block ×6, first 2 shown]
	v_add_f32_e32 v45, v45, v42
	v_add_f32_e32 v42, v44, v42
	s_mov_b32 s10, 0x3f62ad3f
	s_mov_b32 s7, 0x3f116cb1
	;; [unrolled: 1-line block ×6, first 2 shown]
	v_mov_b32_e32 v54, v19
	v_fma_f32 v44, v42, s10, -v43
	v_fmac_f32_e32 v43, 0x3f62ad3f, v42
	v_fma_f32 v47, v42, s7, -v46
	v_fmac_f32_e32 v46, 0x3f116cb1, v42
	;; [unrolled: 2-line block ×5, first 2 shown]
	v_fmac_f32_e32 v54, 0xbf788fa5, v42
	v_fma_f32 v19, v42, s13, -v19
	v_sub_f32_e32 v18, v18, v40
	v_add_f32_e32 v43, v4, v43
	v_add_f32_e32 v44, v4, v44
	;; [unrolled: 1-line block ×13, first 2 shown]
	v_mul_f32_e32 v39, 0xbf52af12, v18
	v_fma_f32 v40, v19, s7, -v39
	v_fmac_f32_e32 v39, 0x3f116cb1, v19
	v_mul_f32_e32 v41, 0xbf6f5d39, v18
	v_add_f32_e32 v39, v39, v43
	v_fma_f32 v42, v19, s11, -v41
	v_fmac_f32_e32 v41, 0xbeb58ec6, v19
	v_mul_f32_e32 v43, 0xbe750f2a, v18
	v_add_f32_e32 v40, v40, v44
	v_add_f32_e32 v41, v41, v46
	v_fma_f32 v44, v19, s13, -v43
	v_fmac_f32_e32 v43, 0xbf788fa5, v19
	v_mul_f32_e32 v46, 0x3f29c268, v18
	v_add_f32_e32 v42, v42, v47
	v_add_f32_e32 v43, v43, v48
	v_fma_f32 v47, v19, s12, -v46
	v_fmac_f32_e32 v46, 0xbf3f9e67, v19
	v_mul_f32_e32 v48, 0x3f7e222b, v18
	v_mul_f32_e32 v18, 0x3eedf032, v18
	v_add_f32_e32 v46, v46, v50
	v_mov_b32_e32 v50, v18
	v_fma_f32 v18, v19, s10, -v18
	v_sub_f32_e32 v17, v17, v37
	v_add_f32_e32 v44, v44, v49
	v_fma_f32 v49, v19, s6, -v48
	v_fmac_f32_e32 v48, 0x3df6dbef, v19
	v_fmac_f32_e32 v50, 0x3f62ad3f, v19
	v_add_f32_e32 v4, v18, v4
	v_add_f32_e32 v18, v38, v36
	v_mul_f32_e32 v19, 0xbf7e222b, v17
	v_fma_f32 v36, v18, s6, -v19
	v_fmac_f32_e32 v19, 0x3df6dbef, v18
	v_mul_f32_e32 v37, 0xbe750f2a, v17
	v_add_f32_e32 v19, v19, v39
	v_fma_f32 v38, v18, s13, -v37
	v_fmac_f32_e32 v37, 0xbf788fa5, v18
	v_mul_f32_e32 v39, 0x3f6f5d39, v17
	v_add_f32_e32 v36, v36, v40
	v_add_f32_e32 v37, v37, v41
	v_fma_f32 v40, v18, s11, -v39
	v_fmac_f32_e32 v39, 0xbeb58ec6, v18
	v_mul_f32_e32 v41, 0x3eedf032, v17
	v_add_f32_e32 v38, v38, v42
	v_add_f32_e32 v39, v39, v43
	v_fma_f32 v42, v18, s10, -v41
	v_fmac_f32_e32 v41, 0x3f62ad3f, v18
	v_mul_f32_e32 v43, 0xbf52af12, v17
	v_mul_f32_e32 v17, 0xbf29c268, v17
	v_add_f32_e32 v41, v41, v46
	v_mov_b32_e32 v46, v17
	v_fma_f32 v17, v18, s12, -v17
	v_sub_f32_e32 v16, v16, v34
	v_add_f32_e32 v40, v40, v44
	v_fma_f32 v44, v18, s7, -v43
	v_fmac_f32_e32 v43, 0x3f116cb1, v18
	v_fmac_f32_e32 v46, 0xbf3f9e67, v18
	v_add_f32_e32 v4, v17, v4
	v_add_f32_e32 v17, v35, v33
	v_mul_f32_e32 v18, 0xbf6f5d39, v16
	v_fma_f32 v33, v17, s11, -v18
	v_fmac_f32_e32 v18, 0xbeb58ec6, v17
	v_add_f32_e32 v18, v18, v19
	v_add_f32_e32 v19, v33, v36
	v_mul_f32_e32 v33, 0x3f29c268, v16
	v_fma_f32 v34, v17, s12, -v33
	v_fmac_f32_e32 v33, 0xbf3f9e67, v17
	v_mul_f32_e32 v35, 0x3eedf032, v16
	v_add_f32_e32 v33, v33, v37
	v_fma_f32 v36, v17, s10, -v35
	v_fmac_f32_e32 v35, 0x3f62ad3f, v17
	v_mul_f32_e32 v37, 0xbf7e222b, v16
	v_add_f32_e32 v34, v34, v38
	v_add_f32_e32 v35, v35, v39
	v_fma_f32 v38, v17, s6, -v37
	v_fmac_f32_e32 v37, 0x3df6dbef, v17
	v_mul_f32_e32 v39, 0x3e750f2a, v16
	v_mul_f32_e32 v16, 0x3f52af12, v16
	v_add_f32_e32 v37, v37, v41
	v_mov_b32_e32 v41, v16
	v_fma_f32 v16, v17, s7, -v16
	v_sub_f32_e32 v9, v9, v32
	v_add_f32_e32 v36, v36, v40
	v_fma_f32 v40, v17, s13, -v39
	v_fmac_f32_e32 v39, 0xbf788fa5, v17
	v_fmac_f32_e32 v41, 0x3f116cb1, v17
	v_add_f32_e32 v4, v16, v4
	v_add_f32_e32 v16, v26, v27
	v_mul_f32_e32 v17, 0xbf29c268, v9
	v_fma_f32 v26, v16, s12, -v17
	v_fmac_f32_e32 v17, 0xbf3f9e67, v16
	v_add_f32_e32 v17, v17, v18
	v_add_f32_e32 v18, v26, v19
	v_mul_f32_e32 v19, 0x3f7e222b, v9
	v_fma_f32 v26, v16, s6, -v19
	v_fmac_f32_e32 v19, 0x3df6dbef, v16
	v_mul_f32_e32 v27, 0xbf52af12, v9
	v_add_f32_e32 v19, v19, v33
	v_fma_f32 v32, v16, s7, -v27
	v_fmac_f32_e32 v27, 0x3f116cb1, v16
	v_mul_f32_e32 v33, 0x3e750f2a, v9
	v_add_f32_e32 v26, v26, v34
	v_add_f32_e32 v27, v27, v35
	v_fma_f32 v34, v16, s13, -v33
	v_fmac_f32_e32 v33, 0xbf788fa5, v16
	v_mul_f32_e32 v35, 0x3eedf032, v9
	v_mul_f32_e32 v9, 0xbf6f5d39, v9
	v_add_f32_e32 v33, v33, v37
	v_mov_b32_e32 v37, v9
	v_fma_f32 v9, v16, s11, -v9
	v_sub_f32_e32 v10, v15, v10
	v_add_f32_e32 v4, v9, v4
	v_add_f32_e32 v9, v20, v21
	v_mul_f32_e32 v15, 0xbe750f2a, v10
	v_add_f32_e32 v32, v32, v36
	v_fma_f32 v36, v16, s10, -v35
	v_fmac_f32_e32 v35, 0x3f62ad3f, v16
	v_fmac_f32_e32 v37, 0xbeb58ec6, v16
	v_fma_f32 v16, v9, s13, -v15
	v_fmac_f32_e32 v15, 0xbf788fa5, v9
	v_add_f32_e32 v15, v15, v17
	v_mul_f32_e32 v17, 0x3eedf032, v10
	v_add_f32_e32 v16, v16, v18
	v_fma_f32 v18, v9, s10, -v17
	v_fmac_f32_e32 v17, 0x3f62ad3f, v9
	v_add_f32_e32 v17, v17, v19
	v_mul_f32_e32 v19, 0xbf29c268, v10
	v_fma_f32 v20, v9, s12, -v19
	v_fmac_f32_e32 v19, 0xbf3f9e67, v9
	v_mul_f32_e32 v21, 0x3f52af12, v10
	v_add_f32_e32 v18, v18, v26
	v_add_f32_e32 v19, v19, v27
	v_fma_f32 v26, v9, s7, -v21
	v_fmac_f32_e32 v21, 0x3f116cb1, v9
	v_mul_f32_e32 v27, 0xbf6f5d39, v10
	v_mul_f32_e32 v10, 0x3f7e222b, v10
	v_add_f32_e32 v47, v47, v51
	v_add_f32_e32 v48, v48, v52
	;; [unrolled: 1-line block ×5, first 2 shown]
	v_mov_b32_e32 v33, v10
	v_add_f32_e32 v42, v42, v47
	v_add_f32_e32 v43, v43, v48
	;; [unrolled: 1-line block ×5, first 2 shown]
	v_fma_f32 v32, v9, s11, -v27
	v_fmac_f32_e32 v27, 0xbeb58ec6, v9
	v_fmac_f32_e32 v33, 0x3df6dbef, v9
	v_fma_f32 v9, v9, s6, -v10
	v_mov_b32_e32 v10, 2
	v_add_f32_e32 v38, v38, v42
	v_add_f32_e32 v39, v39, v43
	;; [unrolled: 1-line block ×5, first 2 shown]
	v_mul_u32_u24_e32 v9, 0x1d4, v30
	v_lshlrev_b32_sdwa v10, v10, v31 dst_sel:DWORD dst_unused:UNUSED_PAD src0_sel:DWORD src1_sel:BYTE_0
	v_add_f32_e32 v34, v34, v38
	v_add_f32_e32 v35, v35, v39
	;; [unrolled: 1-line block ×4, first 2 shown]
	v_add3_u32 v9, 0, v9, v10
	v_add_f32_e32 v26, v26, v34
	v_add_f32_e32 v27, v27, v35
	;; [unrolled: 1-line block ×4, first 2 shown]
	ds_write2_b32 v9, v45, v15 offset1:9
	ds_write2_b32 v9, v17, v19 offset0:18 offset1:27
	ds_write2_b32 v9, v21, v27 offset0:36 offset1:45
	;; [unrolled: 1-line block ×5, first 2 shown]
	ds_write_b32 v9, v16 offset:432
.LBB0_19:
	s_or_b64 exec, exec, s[4:5]
	v_lshlrev_b32_e32 v9, 1, v0
	v_mov_b32_e32 v10, 0
	v_lshlrev_b64 v[15:16], 3, v[9:10]
	v_mov_b32_e32 v4, s9
	v_add_co_u32_e32 v15, vcc, s8, v15
	s_mov_b32 s4, 0x8c09
	v_addc_co_u32_e32 v16, vcc, v4, v16, vcc
	v_mul_u32_u24_sdwa v4, v28, s4 dst_sel:DWORD dst_unused:UNUSED_PAD src0_sel:WORD_0 src1_sel:DWORD
	v_lshrrev_b32_e32 v4, 22, v4
	v_mul_lo_u16_e32 v4, 0x75, v4
	s_waitcnt lgkmcnt(0)
	s_barrier
	global_load_dwordx4 v[17:20], v[15:16], off offset:912
	v_sub_u16_e32 v4, v28, v4
	v_lshlrev_b32_e32 v9, 4, v4
	global_load_dwordx4 v[30:33], v9, s[8:9] offset:912
	ds_read2_b32 v[26:27], v22 offset0:106 offset1:223
	ds_read2_b32 v[34:35], v1 offset1:117
	ds_read2_b32 v[36:37], v24 offset0:62 offset1:179
	ds_read2_b32 v[38:39], v23 offset0:84 offset1:201
	ds_read_b32 v9, v1 offset:3744
	s_waitcnt vmcnt(0) lgkmcnt(0)
	s_barrier
	v_mul_f32_e32 v21, v27, v18
	v_mul_f32_e32 v41, v36, v20
	;; [unrolled: 1-line block ×8, first 2 shown]
	v_fma_f32 v6, v6, v17, -v21
	v_fma_f32 v13, v13, v19, -v41
	v_fmac_f32_e32 v40, v27, v17
	v_fmac_f32_e32 v42, v36, v19
	v_fma_f32 v11, v11, v17, -v43
	v_fmac_f32_e32 v18, v38, v17
	v_fma_f32 v14, v14, v19, -v44
	v_fmac_f32_e32 v20, v37, v19
	v_mul_f32_e32 v17, v39, v31
	v_mul_f32_e32 v21, v9, v33
	;; [unrolled: 1-line block ×3, first 2 shown]
	v_add_f32_e32 v33, v6, v13
	v_mul_f32_e32 v19, v12, v31
	v_add_f32_e32 v31, v7, v6
	v_sub_f32_e32 v36, v40, v42
	v_add_f32_e32 v37, v34, v40
	v_add_f32_e32 v38, v40, v42
	;; [unrolled: 1-line block ×4, first 2 shown]
	v_sub_f32_e32 v43, v18, v20
	v_add_f32_e32 v44, v35, v18
	v_add_f32_e32 v18, v18, v20
	v_fma_f32 v12, v12, v30, -v17
	v_fma_f32 v17, v25, v32, -v21
	v_fma_f32 v7, -0.5, v33, v7
	v_sub_f32_e32 v6, v6, v13
	v_sub_f32_e32 v11, v11, v14
	v_fmac_f32_e32 v19, v39, v30
	v_fmac_f32_e32 v27, v9, v32
	v_add_f32_e32 v9, v31, v13
	v_add_f32_e32 v13, v40, v14
	v_fmac_f32_e32 v8, -0.5, v41
	v_fmac_f32_e32 v35, -0.5, v18
	v_mov_b32_e32 v14, v7
	v_add_f32_e32 v33, v12, v17
	v_add_f32_e32 v21, v37, v42
	v_fma_f32 v25, -0.5, v38, v34
	v_mov_b32_e32 v30, v8
	v_mov_b32_e32 v31, v35
	v_add_f32_e32 v32, v5, v12
	v_sub_f32_e32 v34, v19, v27
	v_add_f32_e32 v37, v26, v19
	v_add_f32_e32 v19, v19, v27
	v_fmac_f32_e32 v14, 0x3f5db3d7, v36
	v_fmac_f32_e32 v5, -0.5, v33
	v_fmac_f32_e32 v7, 0xbf5db3d7, v36
	v_mov_b32_e32 v18, v25
	v_fmac_f32_e32 v8, 0xbf5db3d7, v43
	v_fmac_f32_e32 v35, 0x3f5db3d7, v11
	;; [unrolled: 1-line block ×4, first 2 shown]
	v_fmac_f32_e32 v26, -0.5, v19
	v_mov_b32_e32 v11, v5
	ds_write2_b32 v1, v9, v14 offset1:117
	ds_write2_b32 v22, v7, v13 offset0:106 offset1:223
	ds_write2_b32 v23, v30, v8 offset0:84 offset1:201
	v_lshl_add_u32 v9, v4, 2, 0
	v_fmac_f32_e32 v25, 0x3f5db3d7, v6
	v_fmac_f32_e32 v18, 0xbf5db3d7, v6
	v_add_f32_e32 v6, v32, v17
	v_fmac_f32_e32 v5, 0xbf5db3d7, v34
	v_fmac_f32_e32 v11, 0x3f5db3d7, v34
	v_sub_f32_e32 v12, v12, v17
	v_mov_b32_e32 v17, v26
	v_add_u32_e32 v19, 0xa00, v9
	v_fmac_f32_e32 v17, 0xbf5db3d7, v12
	v_fmac_f32_e32 v26, 0x3f5db3d7, v12
	ds_write2_b32 v19, v6, v11 offset0:62 offset1:179
	ds_write_b32 v9, v5 offset:3744
	s_waitcnt lgkmcnt(0)
	s_barrier
	ds_read2_b32 v[4:5], v1 offset1:117
	ds_read2_b32 v[6:7], v22 offset0:106 offset1:223
	ds_read2_b32 v[11:12], v24 offset0:62 offset1:179
	;; [unrolled: 1-line block ×3, first 2 shown]
	ds_read_b32 v8, v1 offset:3744
	v_add_f32_e32 v20, v44, v20
	v_add_f32_e32 v27, v37, v27
	s_waitcnt lgkmcnt(0)
	s_barrier
	ds_write2_b32 v1, v21, v18 offset1:117
	ds_write2_b32 v22, v25, v20 offset0:106 offset1:223
	ds_write2_b32 v23, v31, v35 offset0:84 offset1:201
	ds_write2_b32 v19, v27, v17 offset0:62 offset1:179
	ds_write_b32 v9, v26 offset:3744
	s_waitcnt lgkmcnt(0)
	s_barrier
	s_and_saveexec_b64 s[4:5], s[0:1]
	s_cbranch_execz .LBB0_21
; %bb.20:
	v_lshlrev_b32_e32 v9, 1, v28
	v_lshlrev_b64 v[17:18], 3, v[9:10]
	v_mov_b32_e32 v27, s9
	v_add_co_u32_e32 v25, vcc, s8, v17
	v_addc_co_u32_e32 v26, vcc, v27, v18, vcc
	v_lshlrev_b32_e32 v9, 1, v29
	global_load_dwordx4 v[17:20], v[25:26], off offset:2784
	global_load_dwordx4 v[21:24], v[15:16], off offset:2784
	v_lshlrev_b64 v[15:16], 3, v[9:10]
	ds_read_b32 v9, v1 offset:3744
	v_add_co_u32_e32 v15, vcc, s8, v15
	v_addc_co_u32_e32 v16, vcc, v27, v16, vcc
	global_load_dwordx4 v[29:32], v[15:16], off offset:2784
	v_add_u32_e32 v25, 0x600, v1
	v_add_u32_e32 v35, 0xa00, v1
	;; [unrolled: 1-line block ×3, first 2 shown]
	ds_read2_b32 v[15:16], v1 offset1:117
	ds_read2_b32 v[25:26], v25 offset0:84 offset1:201
	ds_read2_b32 v[33:34], v27 offset0:106 offset1:223
	;; [unrolled: 1-line block ×3, first 2 shown]
	v_add_co_u32_e32 v2, vcc, s2, v2
	s_movk_i32 s0, 0x1000
	s_waitcnt vmcnt(2)
	v_mul_f32_e32 v1, v8, v20
	v_mul_f32_e32 v27, v14, v18
	s_waitcnt lgkmcnt(2)
	v_mul_f32_e32 v18, v26, v18
	v_mul_f32_e32 v20, v9, v20
	s_waitcnt vmcnt(1) lgkmcnt(1)
	v_mul_f32_e32 v37, v34, v22
	s_waitcnt lgkmcnt(0)
	v_mul_f32_e32 v38, v35, v24
	v_mul_f32_e32 v39, v7, v22
	;; [unrolled: 1-line block ×3, first 2 shown]
	v_fmac_f32_e32 v1, v9, v19
	v_fmac_f32_e32 v27, v26, v17
	v_fma_f32 v9, v14, v17, -v18
	v_fma_f32 v14, v8, v19, -v20
	s_waitcnt vmcnt(0)
	v_mul_f32_e32 v18, v13, v30
	v_mul_f32_e32 v19, v12, v32
	;; [unrolled: 1-line block ×4, first 2 shown]
	v_fma_f32 v26, v7, v21, -v37
	v_fma_f32 v30, v11, v23, -v38
	v_fmac_f32_e32 v39, v21, v34
	v_fmac_f32_e32 v40, v23, v35
	v_add_f32_e32 v7, v33, v27
	v_add_f32_e32 v11, v6, v9
	v_sub_f32_e32 v23, v9, v14
	v_add_f32_e32 v9, v14, v9
	v_fmac_f32_e32 v18, v29, v25
	v_fmac_f32_e32 v19, v31, v36
	v_fma_f32 v13, v13, v29, -v8
	v_fma_f32 v21, v12, v31, -v17
	v_add_f32_e32 v17, v39, v40
	v_add_f32_e32 v8, v1, v7
	;; [unrolled: 1-line block ×3, first 2 shown]
	v_fma_f32 v11, -0.5, v9, v6
	v_add_f32_e32 v6, v18, v19
	v_sub_f32_e32 v24, v27, v1
	v_fma_f32 v14, -0.5, v17, v15
	v_mov_b32_e32 v17, v11
	v_fma_f32 v6, -0.5, v6, v16
	v_add_f32_e32 v20, v1, v27
	v_sub_f32_e32 v1, v13, v21
	v_fmac_f32_e32 v11, 0x3f5db3d7, v24
	v_fmac_f32_e32 v17, 0xbf5db3d7, v24
	v_mov_b32_e32 v24, v6
	v_fmac_f32_e32 v6, 0xbf5db3d7, v1
	v_fmac_f32_e32 v24, 0x3f5db3d7, v1
	v_add_f32_e32 v1, v39, v15
	v_fma_f32 v12, -0.5, v20, v33
	v_add_f32_e32 v20, v18, v16
	v_add_f32_e32 v16, v40, v1
	v_add_f32_e32 v1, v4, v26
	v_add_f32_e32 v22, v26, v30
	v_add_f32_e32 v15, v1, v30
	v_mov_b32_e32 v1, v10
	v_add_f32_e32 v9, v13, v21
	v_add_f32_e32 v31, v5, v13
	v_fma_f32 v13, -0.5, v22, v4
	v_mov_b32_e32 v4, s3
	v_lshlrev_b64 v[0:1], 3, v[0:1]
	v_addc_co_u32_e32 v3, vcc, v4, v3, vcc
	v_add_co_u32_e32 v0, vcc, v2, v0
	v_addc_co_u32_e32 v1, vcc, v3, v1, vcc
	v_add_co_u32_e32 v2, vcc, s0, v0
	s_mov_b32 s0, 0x756cac21
	v_mul_hi_u32 v4, v28, s0
	v_sub_f32_e32 v25, v26, v30
	v_sub_f32_e32 v27, v39, v40
	;; [unrolled: 1-line block ×3, first 2 shown]
	v_mov_b32_e32 v18, v12
	v_fma_f32 v5, -0.5, v9, v5
	v_add_f32_e32 v20, v19, v20
	v_add_f32_e32 v19, v31, v21
	v_mov_b32_e32 v22, v14
	v_mov_b32_e32 v21, v13
	v_fmac_f32_e32 v12, 0xbf5db3d7, v23
	v_fmac_f32_e32 v18, 0x3f5db3d7, v23
	v_mov_b32_e32 v23, v5
	v_fmac_f32_e32 v22, 0x3f5db3d7, v25
	v_fmac_f32_e32 v21, 0xbf5db3d7, v27
	v_addc_co_u32_e32 v3, vcc, 0, v1, vcc
	v_fmac_f32_e32 v14, 0xbf5db3d7, v25
	v_fmac_f32_e32 v5, 0x3f5db3d7, v29
	;; [unrolled: 1-line block ×4, first 2 shown]
	global_store_dwordx2 v[0:1], v[15:16], off
	global_store_dwordx2 v[0:1], v[13:14], off offset:2808
	global_store_dwordx2 v[2:3], v[21:22], off offset:1520
	;; [unrolled: 1-line block ×5, first 2 shown]
	v_sub_u32_e32 v2, v28, v4
	v_lshrrev_b32_e32 v2, 1, v2
	v_add_u32_e32 v2, v2, v4
	v_lshrrev_b32_e32 v2, 8, v2
	v_mul_u32_u24_e32 v9, 0x2be, v2
	v_lshlrev_b64 v[2:3], 3, v[9:10]
	v_add_co_u32_e32 v0, vcc, v0, v2
	v_addc_co_u32_e32 v1, vcc, v1, v3, vcc
	v_add_co_u32_e32 v2, vcc, 0x750, v0
	v_addc_co_u32_e32 v3, vcc, 0, v1, vcc
	global_store_dwordx2 v[0:1], v[7:8], off offset:1872
	global_store_dwordx2 v[2:3], v[11:12], off offset:2808
	v_add_co_u32_e32 v0, vcc, 0x1000, v0
	v_addc_co_u32_e32 v1, vcc, 0, v1, vcc
	global_store_dwordx2 v[0:1], v[17:18], off offset:3392
.LBB0_21:
	s_endpgm
	.section	.rodata,"a",@progbits
	.p2align	6, 0x0
	.amdhsa_kernel fft_rtc_fwd_len1053_factors_3_3_13_3_3_wgs_117_tpt_117_halfLds_sp_ip_CI_unitstride_sbrr_dirReg
		.amdhsa_group_segment_fixed_size 0
		.amdhsa_private_segment_fixed_size 0
		.amdhsa_kernarg_size 88
		.amdhsa_user_sgpr_count 6
		.amdhsa_user_sgpr_private_segment_buffer 1
		.amdhsa_user_sgpr_dispatch_ptr 0
		.amdhsa_user_sgpr_queue_ptr 0
		.amdhsa_user_sgpr_kernarg_segment_ptr 1
		.amdhsa_user_sgpr_dispatch_id 0
		.amdhsa_user_sgpr_flat_scratch_init 0
		.amdhsa_user_sgpr_private_segment_size 0
		.amdhsa_uses_dynamic_stack 0
		.amdhsa_system_sgpr_private_segment_wavefront_offset 0
		.amdhsa_system_sgpr_workgroup_id_x 1
		.amdhsa_system_sgpr_workgroup_id_y 0
		.amdhsa_system_sgpr_workgroup_id_z 0
		.amdhsa_system_sgpr_workgroup_info 0
		.amdhsa_system_vgpr_workitem_id 0
		.amdhsa_next_free_vgpr 64
		.amdhsa_next_free_sgpr 22
		.amdhsa_reserve_vcc 1
		.amdhsa_reserve_flat_scratch 0
		.amdhsa_float_round_mode_32 0
		.amdhsa_float_round_mode_16_64 0
		.amdhsa_float_denorm_mode_32 3
		.amdhsa_float_denorm_mode_16_64 3
		.amdhsa_dx10_clamp 1
		.amdhsa_ieee_mode 1
		.amdhsa_fp16_overflow 0
		.amdhsa_exception_fp_ieee_invalid_op 0
		.amdhsa_exception_fp_denorm_src 0
		.amdhsa_exception_fp_ieee_div_zero 0
		.amdhsa_exception_fp_ieee_overflow 0
		.amdhsa_exception_fp_ieee_underflow 0
		.amdhsa_exception_fp_ieee_inexact 0
		.amdhsa_exception_int_div_zero 0
	.end_amdhsa_kernel
	.text
.Lfunc_end0:
	.size	fft_rtc_fwd_len1053_factors_3_3_13_3_3_wgs_117_tpt_117_halfLds_sp_ip_CI_unitstride_sbrr_dirReg, .Lfunc_end0-fft_rtc_fwd_len1053_factors_3_3_13_3_3_wgs_117_tpt_117_halfLds_sp_ip_CI_unitstride_sbrr_dirReg
                                        ; -- End function
	.section	.AMDGPU.csdata,"",@progbits
; Kernel info:
; codeLenInByte = 7452
; NumSgprs: 26
; NumVgprs: 64
; ScratchSize: 0
; MemoryBound: 0
; FloatMode: 240
; IeeeMode: 1
; LDSByteSize: 0 bytes/workgroup (compile time only)
; SGPRBlocks: 3
; VGPRBlocks: 15
; NumSGPRsForWavesPerEU: 26
; NumVGPRsForWavesPerEU: 64
; Occupancy: 4
; WaveLimiterHint : 1
; COMPUTE_PGM_RSRC2:SCRATCH_EN: 0
; COMPUTE_PGM_RSRC2:USER_SGPR: 6
; COMPUTE_PGM_RSRC2:TRAP_HANDLER: 0
; COMPUTE_PGM_RSRC2:TGID_X_EN: 1
; COMPUTE_PGM_RSRC2:TGID_Y_EN: 0
; COMPUTE_PGM_RSRC2:TGID_Z_EN: 0
; COMPUTE_PGM_RSRC2:TIDIG_COMP_CNT: 0
	.type	__hip_cuid_a17de926e1d5d4d7,@object ; @__hip_cuid_a17de926e1d5d4d7
	.section	.bss,"aw",@nobits
	.globl	__hip_cuid_a17de926e1d5d4d7
__hip_cuid_a17de926e1d5d4d7:
	.byte	0                               ; 0x0
	.size	__hip_cuid_a17de926e1d5d4d7, 1

	.ident	"AMD clang version 19.0.0git (https://github.com/RadeonOpenCompute/llvm-project roc-6.4.0 25133 c7fe45cf4b819c5991fe208aaa96edf142730f1d)"
	.section	".note.GNU-stack","",@progbits
	.addrsig
	.addrsig_sym __hip_cuid_a17de926e1d5d4d7
	.amdgpu_metadata
---
amdhsa.kernels:
  - .args:
      - .actual_access:  read_only
        .address_space:  global
        .offset:         0
        .size:           8
        .value_kind:     global_buffer
      - .offset:         8
        .size:           8
        .value_kind:     by_value
      - .actual_access:  read_only
        .address_space:  global
        .offset:         16
        .size:           8
        .value_kind:     global_buffer
      - .actual_access:  read_only
        .address_space:  global
        .offset:         24
        .size:           8
        .value_kind:     global_buffer
      - .offset:         32
        .size:           8
        .value_kind:     by_value
      - .actual_access:  read_only
        .address_space:  global
        .offset:         40
        .size:           8
        .value_kind:     global_buffer
      - .actual_access:  read_only
        .address_space:  global
        .offset:         48
        .size:           8
        .value_kind:     global_buffer
      - .offset:         56
        .size:           4
        .value_kind:     by_value
      - .actual_access:  read_only
        .address_space:  global
        .offset:         64
        .size:           8
        .value_kind:     global_buffer
      - .actual_access:  read_only
        .address_space:  global
        .offset:         72
        .size:           8
        .value_kind:     global_buffer
      - .address_space:  global
        .offset:         80
        .size:           8
        .value_kind:     global_buffer
    .group_segment_fixed_size: 0
    .kernarg_segment_align: 8
    .kernarg_segment_size: 88
    .language:       OpenCL C
    .language_version:
      - 2
      - 0
    .max_flat_workgroup_size: 117
    .name:           fft_rtc_fwd_len1053_factors_3_3_13_3_3_wgs_117_tpt_117_halfLds_sp_ip_CI_unitstride_sbrr_dirReg
    .private_segment_fixed_size: 0
    .sgpr_count:     26
    .sgpr_spill_count: 0
    .symbol:         fft_rtc_fwd_len1053_factors_3_3_13_3_3_wgs_117_tpt_117_halfLds_sp_ip_CI_unitstride_sbrr_dirReg.kd
    .uniform_work_group_size: 1
    .uses_dynamic_stack: false
    .vgpr_count:     64
    .vgpr_spill_count: 0
    .wavefront_size: 64
amdhsa.target:   amdgcn-amd-amdhsa--gfx906
amdhsa.version:
  - 1
  - 2
...

	.end_amdgpu_metadata
